;; amdgpu-corpus repo=ROCm/rocFFT kind=compiled arch=gfx906 opt=O3
	.text
	.amdgcn_target "amdgcn-amd-amdhsa--gfx906"
	.amdhsa_code_object_version 6
	.protected	bluestein_single_back_len1152_dim1_dp_op_CI_CI ; -- Begin function bluestein_single_back_len1152_dim1_dp_op_CI_CI
	.globl	bluestein_single_back_len1152_dim1_dp_op_CI_CI
	.p2align	8
	.type	bluestein_single_back_len1152_dim1_dp_op_CI_CI,@function
bluestein_single_back_len1152_dim1_dp_op_CI_CI: ; @bluestein_single_back_len1152_dim1_dp_op_CI_CI
; %bb.0:
	s_load_dwordx4 s[16:19], s[4:5], 0x28
	v_mul_u32_u24_e32 v1, 0x1c8, v0
	v_add_u32_sdwa v152, s6, v1 dst_sel:DWORD dst_unused:UNUSED_PAD src0_sel:DWORD src1_sel:WORD_1
	v_mov_b32_e32 v153, 0
	s_waitcnt lgkmcnt(0)
	v_cmp_gt_u64_e32 vcc, s[16:17], v[152:153]
	s_and_saveexec_b64 s[0:1], vcc
	s_cbranch_execz .LBB0_18
; %bb.1:
	s_load_dwordx4 s[0:3], s[4:5], 0x18
	s_load_dwordx4 s[12:15], s[4:5], 0x0
	s_waitcnt lgkmcnt(0)
	s_load_dwordx4 s[8:11], s[0:1], 0x0
	s_movk_i32 s0, 0x90
	v_mul_lo_u16_sdwa v1, v1, s0 dst_sel:DWORD dst_unused:UNUSED_PAD src0_sel:WORD_1 src1_sel:DWORD
	v_sub_u16_e32 v154, v0, v1
	v_lshlrev_b32_e32 v153, 4, v154
	s_waitcnt lgkmcnt(0)
	v_mad_u64_u32 v[0:1], s[6:7], s10, v152, 0
	v_mad_u64_u32 v[2:3], s[6:7], s8, v154, 0
	s_mul_i32 s1, s9, 0x1200
	v_mad_u64_u32 v[4:5], s[6:7], s11, v152, v[1:2]
	v_mad_u64_u32 v[5:6], s[6:7], s9, v154, v[3:4]
	v_mov_b32_e32 v1, v4
	v_lshlrev_b64 v[0:1], 4, v[0:1]
	v_mov_b32_e32 v6, s19
	v_mov_b32_e32 v3, v5
	v_add_co_u32_e32 v4, vcc, s18, v0
	v_addc_co_u32_e32 v5, vcc, v6, v1, vcc
	v_lshlrev_b64 v[0:1], 4, v[2:3]
	v_mov_b32_e32 v2, s13
	v_add_co_u32_e32 v0, vcc, v4, v0
	v_addc_co_u32_e32 v1, vcc, v5, v1, vcc
	v_add_co_u32_e32 v10, vcc, s12, v153
	s_mul_hi_u32 s6, s8, 0x1200
	v_addc_co_u32_e32 v11, vcc, 0, v2, vcc
	s_add_i32 s1, s6, s1
	s_mul_i32 s6, s8, 0x1200
	v_mov_b32_e32 v2, s1
	v_add_co_u32_e32 v4, vcc, s6, v0
	v_addc_co_u32_e32 v5, vcc, v1, v2, vcc
	s_movk_i32 s7, 0x1000
	v_add_co_u32_e32 v20, vcc, s7, v10
	v_addc_co_u32_e32 v21, vcc, 0, v11, vcc
	v_mov_b32_e32 v6, s1
	v_add_co_u32_e32 v8, vcc, s6, v4
	v_addc_co_u32_e32 v9, vcc, v5, v6, vcc
	s_movk_i32 s7, 0x2000
	v_add_co_u32_e32 v24, vcc, s7, v10
	v_addc_co_u32_e32 v25, vcc, 0, v11, vcc
	global_load_dwordx4 v[32:35], v[0:1], off
	global_load_dwordx4 v[36:39], v[4:5], off
	;; [unrolled: 1-line block ×3, first 2 shown]
	v_mov_b32_e32 v12, s1
	v_add_co_u32_e32 v8, vcc, s6, v8
	v_addc_co_u32_e32 v9, vcc, v9, v12, vcc
	s_movk_i32 s7, 0x3000
	v_add_co_u32_e32 v64, vcc, s7, v10
	global_load_dwordx4 v[0:3], v[20:21], off offset:512
	global_load_dwordx4 v[4:7], v[24:25], off offset:1024
	global_load_dwordx4 v[44:47], v[8:9], off
	v_addc_co_u32_e32 v65, vcc, 0, v11, vcc
	global_load_dwordx4 v[28:31], v153, s[12:13]
	global_load_dwordx4 v[12:15], v[64:65], off offset:1536
	v_mov_b32_e32 v10, 0xffffd300
	v_mad_u64_u32 v[16:17], s[10:11], s8, v10, v[8:9]
	s_mul_i32 s7, s9, 0xffffd300
	s_sub_i32 s7, s7, s8
	v_add_u32_e32 v17, s7, v17
	global_load_dwordx4 v[48:51], v[16:17], off
	global_load_dwordx4 v[8:11], v153, s[12:13] offset:2304
	v_mov_b32_e32 v18, s1
	v_add_co_u32_e32 v22, vcc, s6, v16
	v_addc_co_u32_e32 v23, vcc, v17, v18, vcc
	global_load_dwordx4 v[52:55], v[22:23], off
	global_load_dwordx4 v[16:19], v[20:21], off offset:2816
	v_mov_b32_e32 v20, s1
	v_add_co_u32_e32 v26, vcc, s6, v22
	v_addc_co_u32_e32 v27, vcc, v23, v20, vcc
	global_load_dwordx4 v[56:59], v[26:27], off
	global_load_dwordx4 v[20:23], v[24:25], off offset:3328
	v_mov_b32_e32 v24, s1
	v_add_co_u32_e32 v66, vcc, s6, v26
	v_addc_co_u32_e32 v67, vcc, v27, v24, vcc
	global_load_dwordx4 v[60:63], v[66:67], off
	global_load_dwordx4 v[24:27], v[64:65], off offset:3840
	s_load_dwordx2 s[6:7], s[4:5], 0x38
	s_load_dwordx4 s[8:11], s[2:3], 0x0
	v_add_co_u32_e32 v84, vcc, s0, v154
	v_lshlrev_b32_e32 v133, 6, v84
	s_movk_i32 s0, 0x60
	v_cmp_gt_u16_e64 s[0:1], s0, v154
	s_waitcnt vmcnt(12)
	v_mul_f64 v[68:69], v[38:39], v[2:3]
	v_mul_f64 v[70:71], v[36:37], v[2:3]
	s_waitcnt vmcnt(11)
	v_mul_f64 v[72:73], v[42:43], v[6:7]
	s_waitcnt vmcnt(9)
	v_mul_f64 v[64:65], v[34:35], v[30:31]
	v_mul_f64 v[66:67], v[32:33], v[30:31]
	s_waitcnt vmcnt(8)
	v_mul_f64 v[74:75], v[44:45], v[14:15]
	v_fma_f64 v[36:37], v[36:37], v[0:1], v[68:69]
	v_fma_f64 v[38:39], v[38:39], v[0:1], -v[70:71]
	v_fma_f64 v[32:33], v[32:33], v[28:29], v[64:65]
	v_fma_f64 v[34:35], v[34:35], v[28:29], -v[66:67]
	v_mul_f64 v[64:65], v[40:41], v[6:7]
	v_mul_f64 v[66:67], v[46:47], v[14:15]
	s_waitcnt vmcnt(6)
	v_mul_f64 v[68:69], v[50:51], v[10:11]
	v_mul_f64 v[70:71], v[48:49], v[10:11]
	v_fma_f64 v[40:41], v[40:41], v[4:5], v[72:73]
	v_fma_f64 v[46:47], v[46:47], v[12:13], -v[74:75]
	v_fma_f64 v[42:43], v[42:43], v[4:5], -v[64:65]
	v_fma_f64 v[44:45], v[44:45], v[12:13], v[66:67]
	s_waitcnt vmcnt(4)
	v_mul_f64 v[64:65], v[54:55], v[18:19]
	v_mul_f64 v[66:67], v[52:53], v[18:19]
	v_fma_f64 v[48:49], v[48:49], v[8:9], v[68:69]
	v_fma_f64 v[50:51], v[50:51], v[8:9], -v[70:71]
	s_waitcnt vmcnt(2)
	v_mul_f64 v[68:69], v[58:59], v[22:23]
	v_mul_f64 v[70:71], v[56:57], v[22:23]
	s_waitcnt vmcnt(0)
	v_mul_f64 v[72:73], v[62:63], v[26:27]
	v_mul_f64 v[74:75], v[60:61], v[26:27]
	v_fma_f64 v[52:53], v[52:53], v[16:17], v[64:65]
	v_fma_f64 v[54:55], v[54:55], v[16:17], -v[66:67]
	v_fma_f64 v[56:57], v[56:57], v[20:21], v[68:69]
	v_fma_f64 v[58:59], v[58:59], v[20:21], -v[70:71]
	;; [unrolled: 2-line block ×3, first 2 shown]
	ds_write_b128 v153, v[32:35]
	ds_write_b128 v153, v[36:39] offset:4608
	ds_write_b128 v153, v[40:43] offset:9216
	;; [unrolled: 1-line block ×7, first 2 shown]
	s_waitcnt lgkmcnt(0)
	s_barrier
	ds_read_b128 v[32:35], v153 offset:9216
	ds_read_b128 v[36:39], v153 offset:13824
	ds_read_b128 v[40:43], v153
	ds_read_b128 v[44:47], v153 offset:2304
	ds_read_b128 v[48:51], v153 offset:4608
	;; [unrolled: 1-line block ×5, first 2 shown]
	s_waitcnt lgkmcnt(5)
	v_add_f64 v[64:65], v[40:41], -v[32:33]
	v_add_f64 v[66:67], v[42:43], -v[34:35]
	s_waitcnt lgkmcnt(3)
	v_add_f64 v[68:69], v[48:49], -v[36:37]
	v_add_f64 v[36:37], v[50:51], -v[38:39]
	;; [unrolled: 3-line block ×4, first 2 shown]
	v_fma_f64 v[60:61], v[40:41], 2.0, -v[64:65]
	v_fma_f64 v[62:63], v[42:43], 2.0, -v[66:67]
	;; [unrolled: 1-line block ×8, first 2 shown]
	v_add_f64 v[36:37], v[64:65], -v[36:37]
	v_add_f64 v[38:39], v[66:67], v[68:69]
	v_add_f64 v[32:33], v[60:61], -v[32:33]
	v_add_f64 v[34:35], v[62:63], -v[34:35]
	;; [unrolled: 1-line block ×3, first 2 shown]
	v_add_f64 v[46:47], v[72:73], v[56:57]
	v_add_f64 v[40:41], v[74:75], -v[40:41]
	v_add_f64 v[42:43], v[76:77], -v[42:43]
	v_fma_f64 v[52:53], v[64:65], 2.0, -v[36:37]
	v_fma_f64 v[54:55], v[66:67], 2.0, -v[38:39]
	;; [unrolled: 1-line block ×8, first 2 shown]
	v_lshlrev_b16_e32 v64, 2, v154
	v_lshlrev_b32_e32 v132, 4, v64
	s_barrier
	ds_write_b128 v132, v[48:51]
	ds_write_b128 v132, v[52:55] offset:16
	ds_write_b128 v132, v[32:35] offset:32
	;; [unrolled: 1-line block ×3, first 2 shown]
	ds_write_b128 v133, v[56:59]
	ds_write_b128 v133, v[60:63] offset:16
	ds_write_b128 v133, v[40:43] offset:32
	;; [unrolled: 1-line block ×3, first 2 shown]
	s_waitcnt lgkmcnt(0)
	s_barrier
	ds_read_b128 v[52:55], v153
	ds_read_b128 v[48:51], v153 offset:2304
	ds_read_b128 v[64:67], v153 offset:6144
	;; [unrolled: 1-line block ×5, first 2 shown]
                                        ; implicit-def: $vgpr72_vgpr73
	s_and_saveexec_b64 s[2:3], s[0:1]
	s_cbranch_execz .LBB0_3
; %bb.2:
	ds_read_b128 v[40:43], v153 offset:4608
	ds_read_b128 v[44:47], v153 offset:10752
	;; [unrolled: 1-line block ×3, first 2 shown]
.LBB0_3:
	s_or_b64 exec, exec, s[2:3]
	v_and_b32_e32 v155, 3, v154
	v_lshlrev_b32_e32 v76, 5, v155
	global_load_dwordx4 v[36:39], v76, s[14:15]
	global_load_dwordx4 v[32:35], v76, s[14:15] offset:16
	v_lshrrev_b32_e32 v76, 2, v154
	v_lshrrev_b32_e32 v77, 2, v84
	v_mul_u32_u24_e32 v76, 12, v76
	v_mul_u32_u24_e32 v77, 12, v77
	v_or_b32_e32 v76, v76, v155
	v_or_b32_e32 v77, v77, v155
	v_lshlrev_b32_e32 v157, 4, v76
	v_lshlrev_b32_e32 v156, 4, v77
	s_mov_b32 s2, 0xe8584caa
	s_mov_b32 s3, 0x3febb67a
	;; [unrolled: 1-line block ×4, first 2 shown]
	v_add_co_u32_e32 v128, vcc, 0x120, v154
	v_lshrrev_b32_e32 v158, 2, v128
	s_waitcnt vmcnt(0) lgkmcnt(0)
	s_barrier
	v_mul_f64 v[76:77], v[66:67], v[38:39]
	v_mul_f64 v[78:79], v[64:65], v[38:39]
	;; [unrolled: 1-line block ×12, first 2 shown]
	v_fma_f64 v[64:65], v[64:65], v[36:37], -v[76:77]
	v_fma_f64 v[66:67], v[66:67], v[36:37], v[78:79]
	v_fma_f64 v[68:69], v[68:69], v[32:33], -v[80:81]
	v_fma_f64 v[70:71], v[70:71], v[32:33], v[82:83]
	;; [unrolled: 2-line block ×6, first 2 shown]
	v_add_f64 v[72:73], v[52:53], v[64:65]
	v_add_f64 v[74:75], v[64:65], v[68:69]
	;; [unrolled: 1-line block ×5, first 2 shown]
	v_add_f64 v[97:98], v[78:79], -v[82:83]
	v_add_f64 v[99:100], v[50:51], v[78:79]
	v_add_f64 v[78:79], v[78:79], v[82:83]
	v_add_f64 v[101:102], v[76:77], -v[80:81]
	v_add_f64 v[76:77], v[56:57], v[44:45]
	v_add_f64 v[103:104], v[58:59], v[46:47]
	;; [unrolled: 1-line block ×3, first 2 shown]
	v_add_f64 v[91:92], v[64:65], -v[68:69]
	v_add_f64 v[60:61], v[58:59], -v[46:47]
	;; [unrolled: 1-line block ×3, first 2 shown]
	v_add_f64 v[64:65], v[72:73], v[68:69]
	v_fma_f64 v[72:73], v[74:75], -0.5, v[52:53]
	v_fma_f64 v[74:75], v[89:90], -0.5, v[54:55]
	v_add_f64 v[52:53], v[93:94], v[80:81]
	v_fma_f64 v[80:81], v[95:96], -0.5, v[48:49]
	v_add_f64 v[54:55], v[99:100], v[82:83]
	v_fma_f64 v[82:83], v[78:79], -0.5, v[50:51]
	v_fma_f64 v[48:49], v[76:77], -0.5, v[40:41]
	;; [unrolled: 1-line block ×3, first 2 shown]
	v_add_f64 v[85:86], v[66:67], -v[70:71]
	v_add_f64 v[66:67], v[87:88], v[70:71]
	v_fma_f64 v[70:71], v[91:92], s[4:5], v[74:75]
	v_fma_f64 v[74:75], v[91:92], s[2:3], v[74:75]
	;; [unrolled: 1-line block ×10, first 2 shown]
	ds_write_b128 v157, v[64:67]
	ds_write_b128 v157, v[68:71] offset:64
	ds_write_b128 v157, v[72:75] offset:128
	ds_write_b128 v156, v[52:55]
	ds_write_b128 v156, v[76:79] offset:64
	ds_write_b128 v156, v[80:83] offset:128
	s_and_saveexec_b64 s[4:5], s[0:1]
	s_cbranch_execz .LBB0_5
; %bb.4:
	v_add_f64 v[54:55], v[42:43], v[58:59]
	v_add_f64 v[40:41], v[40:41], v[56:57]
	v_mul_f64 v[52:53], v[62:63], s[2:3]
	v_mul_f64 v[56:57], v[60:61], s[2:3]
	v_add_f64 v[46:47], v[54:55], v[46:47]
	v_add_f64 v[44:45], v[40:41], v[44:45]
	v_add_f64 v[42:43], v[50:51], -v[52:53]
	v_add_f64 v[40:41], v[56:57], v[48:49]
	v_mul_u32_u24_e32 v48, 12, v158
	v_or_b32_e32 v48, v48, v155
	v_lshlrev_b32_e32 v48, 4, v48
	ds_write_b128 v48, v[44:47]
	ds_write_b128 v48, v[40:43] offset:64
	ds_write_b128 v48, v[92:95] offset:128
.LBB0_5:
	s_or_b64 exec, exec, s[4:5]
	s_movk_i32 s2, 0xab
	v_mul_lo_u16_sdwa v40, v154, s2 dst_sel:DWORD dst_unused:UNUSED_PAD src0_sel:BYTE_0 src1_sel:DWORD
	v_lshrrev_b16_e32 v91, 11, v40
	v_mul_lo_u16_e32 v40, 12, v91
	v_sub_u16_e32 v40, v154, v40
	v_and_b32_e32 v118, 0xff, v40
	v_mov_b32_e32 v41, s15
	s_movk_i32 s2, 0x70
	v_mov_b32_e32 v40, s14
	v_mad_u64_u32 v[89:90], s[2:3], v118, s2, v[40:41]
	s_waitcnt lgkmcnt(0)
	s_barrier
	ds_read_b128 v[68:71], v153
	ds_read_b128 v[52:55], v153 offset:2304
	ds_read_b128 v[56:59], v153 offset:4608
	ds_read_b128 v[64:67], v153 offset:6912
	ds_read_b128 v[72:75], v153 offset:9216
	ds_read_b128 v[76:79], v153 offset:11520
	ds_read_b128 v[80:83], v153 offset:13824
	ds_read_b128 v[85:88], v153 offset:16128
	global_load_dwordx4 v[40:43], v[89:90], off offset:176
	global_load_dwordx4 v[44:47], v[89:90], off offset:160
	;; [unrolled: 1-line block ×4, first 2 shown]
	s_mov_b32 s2, 0x667f3bcd
	s_mov_b32 s3, 0xbfe6a09e
	;; [unrolled: 1-line block ×4, first 2 shown]
	s_waitcnt vmcnt(0) lgkmcnt(6)
	v_mul_f64 v[96:97], v[54:55], v[62:63]
	v_fma_f64 v[96:97], v[52:53], v[60:61], -v[96:97]
	v_mul_f64 v[52:53], v[52:53], v[62:63]
	v_fma_f64 v[98:99], v[54:55], v[60:61], v[52:53]
	s_waitcnt lgkmcnt(5)
	v_mul_f64 v[52:53], v[58:59], v[50:51]
	v_fma_f64 v[100:101], v[56:57], v[48:49], -v[52:53]
	v_mul_f64 v[52:53], v[56:57], v[50:51]
	v_fma_f64 v[102:103], v[58:59], v[48:49], v[52:53]
	s_waitcnt lgkmcnt(4)
	;; [unrolled: 5-line block ×3, first 2 shown]
	v_mul_f64 v[52:53], v[74:75], v[42:43]
	v_fma_f64 v[108:109], v[72:73], v[40:41], -v[52:53]
	v_mul_f64 v[52:53], v[72:73], v[42:43]
	v_fma_f64 v[72:73], v[74:75], v[40:41], v[52:53]
	global_load_dwordx4 v[52:55], v[89:90], off offset:224
	global_load_dwordx4 v[56:59], v[89:90], off offset:208
	;; [unrolled: 1-line block ×3, first 2 shown]
	s_waitcnt vmcnt(0) lgkmcnt(0)
	s_barrier
	v_add_f64 v[72:73], v[70:71], -v[72:73]
	v_fma_f64 v[70:71], v[70:71], 2.0, -v[72:73]
	v_mul_f64 v[74:75], v[78:79], v[66:67]
	v_fma_f64 v[74:75], v[76:77], v[64:65], -v[74:75]
	v_mul_f64 v[76:77], v[76:77], v[66:67]
	v_add_f64 v[74:75], v[96:97], -v[74:75]
	v_fma_f64 v[76:77], v[78:79], v[64:65], v[76:77]
	v_mul_f64 v[78:79], v[82:83], v[58:59]
	v_fma_f64 v[96:97], v[96:97], 2.0, -v[74:75]
	v_add_f64 v[76:77], v[98:99], -v[76:77]
	v_fma_f64 v[78:79], v[80:81], v[56:57], -v[78:79]
	v_mul_f64 v[80:81], v[80:81], v[58:59]
	v_fma_f64 v[98:99], v[98:99], 2.0, -v[76:77]
	v_add_f64 v[78:79], v[100:101], -v[78:79]
	v_fma_f64 v[80:81], v[82:83], v[56:57], v[80:81]
	v_mul_f64 v[82:83], v[87:88], v[54:55]
	v_fma_f64 v[89:90], v[100:101], 2.0, -v[78:79]
	v_add_f64 v[80:81], v[102:103], -v[80:81]
	v_fma_f64 v[82:83], v[85:86], v[52:53], -v[82:83]
	v_mul_f64 v[85:86], v[85:86], v[54:55]
	v_add_f64 v[112:113], v[72:73], v[78:79]
	v_fma_f64 v[100:101], v[102:103], 2.0, -v[80:81]
	v_add_f64 v[82:83], v[104:105], -v[82:83]
	v_fma_f64 v[85:86], v[87:88], v[52:53], v[85:86]
	v_add_f64 v[87:88], v[68:69], -v[108:109]
	v_add_f64 v[100:101], v[70:71], -v[100:101]
	v_fma_f64 v[102:103], v[104:105], 2.0, -v[82:83]
	v_add_f64 v[85:86], v[106:107], -v[85:86]
	v_fma_f64 v[68:69], v[68:69], 2.0, -v[87:88]
	v_add_f64 v[110:111], v[87:88], -v[80:81]
	v_add_f64 v[116:117], v[76:77], v[82:83]
	v_fma_f64 v[108:109], v[70:71], 2.0, -v[100:101]
	v_add_f64 v[102:103], v[96:97], -v[102:103]
	v_fma_f64 v[104:105], v[106:107], 2.0, -v[85:86]
	v_add_f64 v[114:115], v[74:75], -v[85:86]
	v_add_f64 v[89:90], v[68:69], -v[89:90]
	v_fma_f64 v[80:81], v[87:88], 2.0, -v[110:111]
	v_fma_f64 v[87:88], v[72:73], 2.0, -v[112:113]
	;; [unrolled: 1-line block ×3, first 2 shown]
	v_add_f64 v[104:105], v[98:99], -v[104:105]
	v_fma_f64 v[78:79], v[74:75], 2.0, -v[114:115]
	v_fma_f64 v[106:107], v[68:69], 2.0, -v[89:90]
	;; [unrolled: 1-line block ×3, first 2 shown]
	v_fma_f64 v[85:86], v[76:77], s[2:3], v[87:88]
	v_add_f64 v[96:97], v[89:90], -v[104:105]
	v_fma_f64 v[70:71], v[98:99], 2.0, -v[104:105]
	v_fma_f64 v[82:83], v[78:79], s[2:3], v[80:81]
	v_add_f64 v[98:99], v[100:101], v[102:103]
	v_fma_f64 v[102:103], v[116:117], s[4:5], v[112:113]
	v_fma_f64 v[78:79], v[78:79], s[4:5], v[85:86]
	v_add_f64 v[68:69], v[106:107], -v[68:69]
	v_fma_f64 v[85:86], v[89:90], 2.0, -v[96:97]
	v_fma_f64 v[89:90], v[114:115], s[4:5], v[110:111]
	v_add_f64 v[70:71], v[108:109], -v[70:71]
	v_fma_f64 v[76:77], v[76:77], s[2:3], v[82:83]
	v_fma_f64 v[102:103], v[114:115], s[4:5], v[102:103]
	v_fma_f64 v[82:83], v[87:88], 2.0, -v[78:79]
	v_fma_f64 v[87:88], v[100:101], 2.0, -v[98:99]
	;; [unrolled: 1-line block ×3, first 2 shown]
	v_fma_f64 v[100:101], v[116:117], s[2:3], v[89:90]
	v_fma_f64 v[74:75], v[108:109], 2.0, -v[70:71]
	v_fma_f64 v[80:81], v[80:81], 2.0, -v[76:77]
	v_fma_f64 v[106:107], v[112:113], 2.0, -v[102:103]
	v_mul_u32_u24_e32 v89, 0x60, v91
	v_or_b32_e32 v89, v89, v118
	v_lshlrev_b32_e32 v159, 4, v89
	v_fma_f64 v[104:105], v[110:111], 2.0, -v[100:101]
	ds_write_b128 v159, v[72:75]
	ds_write_b128 v159, v[80:83] offset:192
	ds_write_b128 v159, v[85:88] offset:384
	;; [unrolled: 1-line block ×7, first 2 shown]
	s_waitcnt lgkmcnt(0)
	s_barrier
	ds_read_b128 v[104:107], v153
	ds_read_b128 v[116:119], v153 offset:6144
	ds_read_b128 v[112:115], v153 offset:12288
	;; [unrolled: 1-line block ×5, first 2 shown]
	s_and_saveexec_b64 s[2:3], s[0:1]
	s_cbranch_execz .LBB0_7
; %bb.6:
	ds_read_b128 v[96:99], v153 offset:4608
	ds_read_b128 v[100:103], v153 offset:10752
	ds_read_b128 v[92:95], v153 offset:16896
.LBB0_7:
	s_or_b64 exec, exec, s[2:3]
	s_movk_i32 s2, 0xffa0
	v_add_co_u32_e32 v68, vcc, s2, v154
	v_addc_co_u32_e64 v69, s[2:3], 0, -1, vcc
	v_cndmask_b32_e64 v130, v69, 0, s[0:1]
	v_cndmask_b32_e64 v129, v68, v154, s[0:1]
	v_lshlrev_b64 v[68:69], 5, v[129:130]
	v_mov_b32_e32 v70, s15
	v_add_co_u32_e32 v68, vcc, s14, v68
	v_addc_co_u32_e32 v69, vcc, v70, v69, vcc
	s_mov_b32 s2, 0xaaab
	global_load_dwordx4 v[76:79], v[68:69], off offset:1488
	global_load_dwordx4 v[80:83], v[68:69], off offset:1472
	v_mul_u32_u24_sdwa v68, v84, s2 dst_sel:DWORD dst_unused:UNUSED_PAD src0_sel:WORD_0 src1_sel:DWORD
	v_lshrrev_b32_e32 v130, 22, v68
	v_mul_lo_u16_e32 v68, 0x60, v130
	v_sub_u16_e32 v131, v84, v68
	v_lshlrev_b16_e32 v68, 5, v131
	v_add_co_u32_e32 v68, vcc, s14, v68
	v_addc_co_u32_e32 v69, vcc, 0, v70, vcc
	global_load_dwordx4 v[84:87], v[68:69], off offset:1488
	global_load_dwordx4 v[88:91], v[68:69], off offset:1472
	v_mul_u32_u24_sdwa v68, v128, s2 dst_sel:DWORD dst_unused:UNUSED_PAD src0_sel:WORD_0 src1_sel:DWORD
	v_lshrrev_b32_e32 v68, 22, v68
	v_mul_lo_u16_e32 v68, 0x60, v68
	v_sub_u16_e32 v164, v128, v68
	v_lshlrev_b16_e32 v68, 5, v164
	v_add_co_u32_e32 v68, vcc, s14, v68
	v_addc_co_u32_e32 v69, vcc, 0, v70, vcc
	global_load_dwordx4 v[72:75], v[68:69], off offset:1472
	s_nop 0
	global_load_dwordx4 v[68:71], v[68:69], off offset:1488
	s_movk_i32 s16, 0x5f
	v_mov_b32_e32 v128, 0x120
	v_cmp_lt_u16_e32 vcc, s16, v154
	s_movk_i32 s17, 0x120
	v_cndmask_b32_e32 v128, 0, v128, vcc
	v_add_lshl_u32 v160, v129, v128, 4
	v_mad_legacy_u16 v128, v130, s17, v131
	v_lshlrev_b32_e32 v161, 4, v128
	s_mov_b32 s2, 0xe8584caa
	s_mov_b32 s3, 0x3febb67a
	;; [unrolled: 1-line block ×4, first 2 shown]
	s_waitcnt vmcnt(0) lgkmcnt(0)
	s_barrier
	v_mul_f64 v[134:135], v[114:115], v[78:79]
	v_mul_f64 v[128:129], v[118:119], v[82:83]
	;; [unrolled: 1-line block ×4, first 2 shown]
	v_fma_f64 v[116:117], v[116:117], v[80:81], -v[128:129]
	v_mul_f64 v[142:143], v[126:127], v[86:87]
	v_mul_f64 v[138:139], v[122:123], v[90:91]
	;; [unrolled: 1-line block ×4, first 2 shown]
	v_fma_f64 v[118:119], v[118:119], v[80:81], v[130:131]
	v_fma_f64 v[128:129], v[112:113], v[76:77], -v[134:135]
	v_fma_f64 v[130:131], v[114:115], v[76:77], v[136:137]
	v_fma_f64 v[124:125], v[124:125], v[84:85], -v[142:143]
	v_fma_f64 v[112:113], v[120:121], v[88:89], -v[138:139]
	v_mul_f64 v[146:147], v[102:103], v[74:75]
	v_mul_f64 v[148:149], v[100:101], v[74:75]
	;; [unrolled: 1-line block ×4, first 2 shown]
	v_fma_f64 v[114:115], v[122:123], v[88:89], v[140:141]
	v_fma_f64 v[126:127], v[126:127], v[84:85], v[144:145]
	v_add_f64 v[120:121], v[104:105], v[116:117]
	v_add_f64 v[122:123], v[116:117], v[128:129]
	v_fma_f64 v[100:101], v[100:101], v[72:73], -v[146:147]
	v_fma_f64 v[102:103], v[102:103], v[72:73], v[148:149]
	v_fma_f64 v[92:93], v[92:93], v[68:69], -v[150:151]
	v_fma_f64 v[94:95], v[94:95], v[68:69], v[162:163]
	v_add_f64 v[134:135], v[118:119], -v[130:131]
	v_add_f64 v[136:137], v[106:107], v[118:119]
	v_add_f64 v[118:119], v[118:119], v[130:131]
	;; [unrolled: 1-line block ×4, first 2 shown]
	v_add_f64 v[116:117], v[116:117], -v[128:129]
	v_add_f64 v[150:151], v[100:101], v[92:93]
	v_add_f64 v[162:163], v[102:103], v[94:95]
	;; [unrolled: 1-line block ×3, first 2 shown]
	v_add_f64 v[142:143], v[114:115], -v[126:127]
	v_add_f64 v[144:145], v[110:111], v[114:115]
	v_add_f64 v[148:149], v[112:113], -v[124:125]
	v_add_f64 v[112:113], v[102:103], -v[94:95]
	;; [unrolled: 1-line block ×3, first 2 shown]
	v_add_f64 v[120:121], v[120:121], v[128:129]
	v_fma_f64 v[128:129], v[122:123], -0.5, v[104:105]
	v_fma_f64 v[118:119], v[118:119], -0.5, v[106:107]
	;; [unrolled: 1-line block ×4, first 2 shown]
	v_add_f64 v[122:123], v[136:137], v[130:131]
	v_fma_f64 v[136:137], v[140:141], -0.5, v[108:109]
	v_fma_f64 v[140:141], v[146:147], -0.5, v[110:111]
	v_add_f64 v[124:125], v[138:139], v[124:125]
	v_fma_f64 v[108:109], v[134:135], s[2:3], v[128:129]
	v_fma_f64 v[110:111], v[116:117], s[4:5], v[118:119]
	;; [unrolled: 1-line block ×6, first 2 shown]
	v_add_f64 v[126:127], v[144:145], v[126:127]
	v_fma_f64 v[134:135], v[142:143], s[2:3], v[136:137]
	v_fma_f64 v[138:139], v[142:143], s[4:5], v[136:137]
	;; [unrolled: 1-line block ×4, first 2 shown]
	v_lshlrev_b32_e32 v162, 4, v164
	ds_write_b128 v160, v[120:123]
	ds_write_b128 v160, v[108:111] offset:1536
	ds_write_b128 v160, v[128:131] offset:3072
	ds_write_b128 v161, v[124:127]
	ds_write_b128 v161, v[134:137] offset:1536
	ds_write_b128 v161, v[138:141] offset:3072
	s_and_saveexec_b64 s[4:5], s[0:1]
	s_cbranch_execz .LBB0_9
; %bb.8:
	v_add_f64 v[98:99], v[98:99], v[102:103]
	v_add_f64 v[102:103], v[96:97], v[100:101]
	v_mul_f64 v[108:109], v[114:115], s[2:3]
	v_mul_f64 v[110:111], v[112:113], s[2:3]
	v_add_f64 v[100:101], v[98:99], v[94:95]
	v_add_f64 v[98:99], v[102:103], v[92:93]
	v_add_f64 v[96:97], v[106:107], -v[108:109]
	v_add_f64 v[94:95], v[110:111], v[104:105]
	ds_write_b128 v162, v[98:101] offset:13824
	ds_write_b128 v162, v[94:97] offset:15360
	;; [unrolled: 1-line block ×3, first 2 shown]
.LBB0_9:
	s_or_b64 exec, exec, s[4:5]
	v_mad_u64_u32 v[108:109], s[2:3], v154, 48, s[14:15]
	s_movk_i32 s2, 0x11c0
	s_movk_i32 s3, 0x2000
	v_add_co_u32_e32 v104, vcc, s2, v108
	v_addc_co_u32_e32 v105, vcc, 0, v109, vcc
	s_movk_i32 s2, 0x1000
	v_add_co_u32_e32 v106, vcc, s2, v108
	v_addc_co_u32_e32 v107, vcc, 0, v109, vcc
	s_waitcnt lgkmcnt(0)
	s_barrier
	global_load_dwordx4 v[96:99], v[106:107], off offset:448
	global_load_dwordx4 v[92:95], v[104:105], off offset:32
	;; [unrolled: 1-line block ×3, first 2 shown]
	v_add_co_u32_e32 v104, vcc, s3, v108
	s_movk_i32 s2, 0x2cc0
	v_addc_co_u32_e32 v105, vcc, 0, v109, vcc
	v_add_co_u32_e32 v108, vcc, s2, v108
	v_addc_co_u32_e32 v109, vcc, 0, v109, vcc
	global_load_dwordx4 v[104:107], v[104:105], off offset:3264
	s_nop 0
	global_load_dwordx4 v[112:115], v[108:109], off offset:16
	s_nop 0
	global_load_dwordx4 v[108:111], v[108:109], off offset:32
	ds_read_b128 v[120:123], v153
	ds_read_b128 v[124:127], v153 offset:2304
	ds_read_b128 v[128:131], v153 offset:4608
	;; [unrolled: 1-line block ×7, first 2 shown]
	v_lshlrev_b32_e32 v150, 4, v154
	v_mov_b32_e32 v151, s13
	v_add_co_u32_e32 v197, vcc, s12, v150
	s_movk_i32 s2, 0x4800
	v_addc_co_u32_e32 v198, vcc, 0, v151, vcc
	v_add_co_u32_e32 v150, vcc, s2, v197
	s_movk_i32 s3, 0x4000
	v_addc_co_u32_e32 v151, vcc, 0, v198, vcc
	;; [unrolled: 3-line block ×4, first 2 shown]
	v_add_co_u32_e32 v171, vcc, s5, v197
	v_addc_co_u32_e32 v172, vcc, 0, v198, vcc
	s_movk_i32 s2, 0x7000
	s_waitcnt vmcnt(5) lgkmcnt(5)
	v_mul_f64 v[173:174], v[130:131], v[98:99]
	v_mul_f64 v[175:176], v[128:129], v[98:99]
	s_waitcnt vmcnt(3) lgkmcnt(3)
	v_mul_f64 v[177:178], v[140:141], v[102:103]
	v_mul_f64 v[179:180], v[138:139], v[102:103]
	s_waitcnt lgkmcnt(1)
	v_mul_f64 v[181:182], v[148:149], v[94:95]
	v_mul_f64 v[183:184], v[146:147], v[94:95]
	v_fma_f64 v[128:129], v[128:129], v[96:97], -v[173:174]
	v_fma_f64 v[130:131], v[130:131], v[96:97], v[175:176]
	v_fma_f64 v[138:139], v[138:139], v[100:101], -v[177:178]
	v_fma_f64 v[140:141], v[140:141], v[100:101], v[179:180]
	s_waitcnt vmcnt(2)
	v_mul_f64 v[185:186], v[136:137], v[106:107]
	v_mul_f64 v[187:188], v[134:135], v[106:107]
	s_waitcnt vmcnt(1)
	v_mul_f64 v[189:190], v[144:145], v[114:115]
	v_mul_f64 v[191:192], v[142:143], v[114:115]
	s_waitcnt vmcnt(0) lgkmcnt(0)
	v_mul_f64 v[193:194], v[165:166], v[110:111]
	v_mul_f64 v[195:196], v[163:164], v[110:111]
	v_fma_f64 v[146:147], v[146:147], v[92:93], -v[181:182]
	v_fma_f64 v[148:149], v[148:149], v[92:93], v[183:184]
	v_fma_f64 v[134:135], v[134:135], v[104:105], -v[185:186]
	v_fma_f64 v[136:137], v[136:137], v[104:105], v[187:188]
	;; [unrolled: 2-line block ×4, first 2 shown]
	v_add_f64 v[138:139], v[120:121], -v[138:139]
	v_add_f64 v[140:141], v[122:123], -v[140:141]
	;; [unrolled: 1-line block ×8, first 2 shown]
	v_fma_f64 v[173:174], v[120:121], 2.0, -v[138:139]
	v_fma_f64 v[175:176], v[122:123], 2.0, -v[140:141]
	;; [unrolled: 1-line block ×8, first 2 shown]
	v_add_f64 v[120:121], v[138:139], -v[148:149]
	v_add_f64 v[122:123], v[140:141], v[146:147]
	v_add_f64 v[124:125], v[142:143], -v[165:166]
	v_add_f64 v[126:127], v[144:145], v[163:164]
	v_add_f64 v[128:129], v[173:174], -v[128:129]
	v_add_f64 v[130:131], v[175:176], -v[130:131]
	;; [unrolled: 1-line block ×4, first 2 shown]
	v_fma_f64 v[138:139], v[138:139], 2.0, -v[120:121]
	v_fma_f64 v[140:141], v[140:141], 2.0, -v[122:123]
	;; [unrolled: 1-line block ×8, first 2 shown]
	ds_write_b128 v153, v[120:123] offset:13824
	ds_write_b128 v153, v[124:127] offset:16128
	;; [unrolled: 1-line block ×6, first 2 shown]
	ds_write_b128 v153, v[146:149]
	ds_write_b128 v153, v[163:166] offset:2304
	s_waitcnt lgkmcnt(0)
	s_barrier
	global_load_dwordx4 v[120:123], v[167:168], off offset:2048
	global_load_dwordx4 v[124:127], v[169:170], off offset:2560
	;; [unrolled: 1-line block ×3, first 2 shown]
	v_add_co_u32_e32 v146, vcc, s2, v197
	v_addc_co_u32_e32 v147, vcc, 0, v198, vcc
	s_mov_b32 s2, 0x8000
	global_load_dwordx4 v[134:137], v[146:147], off offset:3584
	global_load_dwordx4 v[138:141], v[150:151], off offset:2304
	;; [unrolled: 1-line block ×3, first 2 shown]
	s_nop 0
	global_load_dwordx4 v[146:149], v[146:147], off offset:1280
	v_add_co_u32_e32 v150, vcc, s2, v197
	v_addc_co_u32_e32 v151, vcc, 0, v198, vcc
	global_load_dwordx4 v[163:166], v[150:151], off offset:1792
	ds_read_b128 v[167:170], v153
	ds_read_b128 v[171:174], v153 offset:2304
	ds_read_b128 v[175:178], v153 offset:4608
	;; [unrolled: 1-line block ×7, first 2 shown]
	s_waitcnt vmcnt(7) lgkmcnt(7)
	v_mul_f64 v[150:151], v[169:170], v[122:123]
	v_mul_f64 v[122:123], v[167:168], v[122:123]
	s_waitcnt vmcnt(6) lgkmcnt(5)
	v_mul_f64 v[199:200], v[177:178], v[126:127]
	v_mul_f64 v[126:127], v[175:176], v[126:127]
	;; [unrolled: 3-line block ×4, first 2 shown]
	s_waitcnt vmcnt(3)
	v_mul_f64 v[205:206], v[173:174], v[140:141]
	v_mul_f64 v[140:141], v[171:172], v[140:141]
	s_waitcnt vmcnt(2)
	v_mul_f64 v[207:208], v[181:182], v[144:145]
	v_mul_f64 v[144:145], v[179:180], v[144:145]
	s_waitcnt vmcnt(1)
	v_mul_f64 v[209:210], v[189:190], v[148:149]
	v_mul_f64 v[211:212], v[187:188], v[148:149]
	s_waitcnt vmcnt(0) lgkmcnt(0)
	v_mul_f64 v[213:214], v[197:198], v[165:166]
	v_mul_f64 v[215:216], v[195:196], v[165:166]
	v_fma_f64 v[148:149], v[167:168], v[120:121], -v[150:151]
	v_fma_f64 v[150:151], v[169:170], v[120:121], v[122:123]
	v_fma_f64 v[120:121], v[175:176], v[124:125], -v[199:200]
	v_fma_f64 v[122:123], v[177:178], v[124:125], v[126:127]
	;; [unrolled: 2-line block ×8, first 2 shown]
	ds_write_b128 v153, v[148:151]
	ds_write_b128 v153, v[120:123] offset:4608
	ds_write_b128 v153, v[124:127] offset:9216
	;; [unrolled: 1-line block ×7, first 2 shown]
	s_waitcnt lgkmcnt(0)
	s_barrier
	ds_read_b128 v[120:123], v153
	ds_read_b128 v[124:127], v153 offset:2304
	ds_read_b128 v[128:131], v153 offset:4608
	;; [unrolled: 1-line block ×7, first 2 shown]
	s_waitcnt lgkmcnt(0)
	v_add_f64 v[138:139], v[120:121], -v[138:139]
	v_add_f64 v[140:141], v[122:123], -v[140:141]
	;; [unrolled: 1-line block ×8, first 2 shown]
	v_fma_f64 v[165:166], v[120:121], 2.0, -v[138:139]
	v_fma_f64 v[167:168], v[122:123], 2.0, -v[140:141]
	;; [unrolled: 1-line block ×8, first 2 shown]
	v_add_f64 v[124:125], v[138:139], v[148:149]
	v_add_f64 v[126:127], v[140:141], -v[146:147]
	v_add_f64 v[128:129], v[142:143], v[163:164]
	v_add_f64 v[130:131], v[144:145], -v[150:151]
	v_add_f64 v[134:135], v[165:166], -v[120:121]
	;; [unrolled: 1-line block ×5, first 2 shown]
	v_fma_f64 v[138:139], v[138:139], 2.0, -v[124:125]
	v_fma_f64 v[140:141], v[140:141], 2.0, -v[126:127]
	v_fma_f64 v[142:143], v[142:143], 2.0, -v[128:129]
	v_fma_f64 v[144:145], v[144:145], 2.0, -v[130:131]
	v_fma_f64 v[146:147], v[165:166], 2.0, -v[134:135]
	v_fma_f64 v[148:149], v[167:168], 2.0, -v[136:137]
	v_fma_f64 v[163:164], v[169:170], 2.0, -v[120:121]
	v_fma_f64 v[165:166], v[171:172], 2.0, -v[122:123]
	s_barrier
	ds_write_b128 v132, v[124:127] offset:48
	ds_write_b128 v133, v[128:131] offset:48
	;; [unrolled: 1-line block ×6, first 2 shown]
	ds_write_b128 v132, v[146:149]
	ds_write_b128 v133, v[163:166]
	s_waitcnt lgkmcnt(0)
	s_barrier
	ds_read_b128 v[132:135], v153
	ds_read_b128 v[124:127], v153 offset:2304
	ds_read_b128 v[144:147], v153 offset:6144
	;; [unrolled: 1-line block ×5, first 2 shown]
	s_and_saveexec_b64 s[2:3], s[0:1]
	s_cbranch_execz .LBB0_11
; %bb.10:
	ds_read_b128 v[120:123], v153 offset:4608
	ds_read_b128 v[128:131], v153 offset:10752
	;; [unrolled: 1-line block ×3, first 2 shown]
.LBB0_11:
	s_or_b64 exec, exec, s[2:3]
	s_waitcnt lgkmcnt(3)
	v_mul_f64 v[163:164], v[38:39], v[146:147]
	v_mul_f64 v[165:166], v[38:39], v[144:145]
	s_waitcnt lgkmcnt(1)
	v_mul_f64 v[167:168], v[34:35], v[150:151]
	v_mul_f64 v[169:170], v[34:35], v[148:149]
	;; [unrolled: 1-line block ×4, first 2 shown]
	s_waitcnt lgkmcnt(0)
	v_mul_f64 v[175:176], v[34:35], v[138:139]
	s_mov_b32 s4, 0xe8584caa
	v_fma_f64 v[144:145], v[36:37], v[144:145], v[163:164]
	v_fma_f64 v[146:147], v[36:37], v[146:147], -v[165:166]
	v_fma_f64 v[148:149], v[32:33], v[148:149], v[167:168]
	v_fma_f64 v[150:151], v[32:33], v[150:151], -v[169:170]
	v_fma_f64 v[165:166], v[36:37], v[140:141], v[171:172]
	v_mul_f64 v[140:141], v[38:39], v[130:131]
	v_mul_f64 v[163:164], v[34:35], v[136:137]
	v_fma_f64 v[167:168], v[36:37], v[142:143], -v[173:174]
	v_fma_f64 v[169:170], v[32:33], v[136:137], v[175:176]
	v_mul_f64 v[136:137], v[38:39], v[128:129]
	v_mul_f64 v[142:143], v[34:35], v[118:119]
	v_add_f64 v[171:172], v[144:145], v[148:149]
	v_mul_f64 v[34:35], v[34:35], v[116:117]
	v_fma_f64 v[38:39], v[36:37], v[128:129], v[140:141]
	v_add_f64 v[140:141], v[146:147], v[150:151]
	v_fma_f64 v[173:174], v[32:33], v[138:139], -v[163:164]
	v_add_f64 v[138:139], v[132:133], v[144:145]
	v_fma_f64 v[128:129], v[36:37], v[130:131], -v[136:137]
	v_fma_f64 v[36:37], v[32:33], v[116:117], v[142:143]
	v_fma_f64 v[130:131], v[171:172], -0.5, v[132:133]
	v_add_f64 v[142:143], v[146:147], -v[150:151]
	v_fma_f64 v[116:117], v[32:33], v[118:119], -v[34:35]
	v_add_f64 v[32:33], v[134:135], v[146:147]
	v_fma_f64 v[34:35], v[140:141], -0.5, v[134:135]
	v_add_f64 v[118:119], v[144:145], -v[148:149]
	s_mov_b32 s5, 0xbfebb67a
	s_mov_b32 s3, 0x3febb67a
	;; [unrolled: 1-line block ×3, first 2 shown]
	v_add_f64 v[132:133], v[138:139], v[148:149]
	v_fma_f64 v[136:137], v[142:143], s[4:5], v[130:131]
	v_fma_f64 v[140:141], v[142:143], s[2:3], v[130:131]
	v_add_f64 v[130:131], v[165:166], v[169:170]
	v_add_f64 v[134:135], v[32:33], v[150:151]
	v_fma_f64 v[138:139], v[118:119], s[2:3], v[34:35]
	v_add_f64 v[32:33], v[167:168], v[173:174]
	v_fma_f64 v[142:143], v[118:119], s[4:5], v[34:35]
	v_add_f64 v[34:35], v[38:39], v[36:37]
	v_add_f64 v[146:147], v[128:129], v[116:117]
	;; [unrolled: 1-line block ×3, first 2 shown]
	v_fma_f64 v[150:151], v[130:131], -0.5, v[124:125]
	v_add_f64 v[163:164], v[167:168], -v[173:174]
	v_add_f64 v[167:168], v[126:127], v[167:168]
	v_fma_f64 v[32:33], v[32:33], -0.5, v[126:127]
	v_add_f64 v[165:166], v[165:166], -v[169:170]
	v_fma_f64 v[118:119], v[34:35], -0.5, v[120:121]
	v_add_f64 v[126:127], v[128:129], -v[116:117]
	;; [unrolled: 2-line block ×3, first 2 shown]
	v_fma_f64 v[148:149], v[163:164], s[4:5], v[150:151]
	v_fma_f64 v[163:164], v[163:164], s[2:3], v[150:151]
	v_add_f64 v[144:145], v[144:145], v[169:170]
	v_fma_f64 v[150:151], v[165:166], s[2:3], v[32:33]
	v_fma_f64 v[165:166], v[165:166], s[4:5], v[32:33]
	;; [unrolled: 1-line block ×3, first 2 shown]
	v_add_f64 v[146:147], v[167:168], v[173:174]
	v_fma_f64 v[34:35], v[130:131], s[4:5], v[124:125]
	s_barrier
	ds_write_b128 v157, v[132:135]
	ds_write_b128 v157, v[136:139] offset:64
	ds_write_b128 v157, v[140:143] offset:128
	ds_write_b128 v156, v[144:147]
	ds_write_b128 v156, v[148:151] offset:64
	ds_write_b128 v156, v[163:166] offset:128
	s_and_saveexec_b64 s[4:5], s[0:1]
	s_cbranch_execz .LBB0_13
; %bb.12:
	v_add_f64 v[122:123], v[128:129], v[122:123]
	v_add_f64 v[120:121], v[38:39], v[120:121]
	v_mul_f64 v[130:131], v[130:131], s[2:3]
	v_mul_f64 v[126:127], v[126:127], s[2:3]
	v_add_f64 v[122:123], v[116:117], v[122:123]
	v_add_f64 v[120:121], v[120:121], v[36:37]
	;; [unrolled: 1-line block ×3, first 2 shown]
	v_add_f64 v[36:37], v[118:119], -v[126:127]
	v_mul_u32_u24_e32 v116, 12, v158
	v_or_b32_e32 v116, v116, v155
	v_lshlrev_b32_e32 v116, 4, v116
	ds_write_b128 v116, v[120:123]
	ds_write_b128 v116, v[36:39] offset:64
	ds_write_b128 v116, v[32:35] offset:128
.LBB0_13:
	s_or_b64 exec, exec, s[4:5]
	s_waitcnt lgkmcnt(0)
	s_barrier
	ds_read_b128 v[36:39], v153
	ds_read_b128 v[116:119], v153 offset:2304
	ds_read_b128 v[120:123], v153 offset:4608
	;; [unrolled: 1-line block ×5, first 2 shown]
	s_waitcnt lgkmcnt(4)
	v_mul_f64 v[144:145], v[62:63], v[118:119]
	v_mul_f64 v[62:63], v[62:63], v[116:117]
	s_waitcnt lgkmcnt(3)
	v_mul_f64 v[146:147], v[50:51], v[122:123]
	v_mul_f64 v[50:51], v[50:51], v[120:121]
	;; [unrolled: 3-line block ×3, first 2 shown]
	ds_read_b128 v[136:139], v153 offset:13824
	ds_read_b128 v[140:143], v153 offset:16128
	s_mov_b32 s2, 0x667f3bcd
	v_fma_f64 v[116:117], v[60:61], v[116:117], v[144:145]
	v_fma_f64 v[60:61], v[60:61], v[118:119], -v[62:63]
	v_fma_f64 v[62:63], v[48:49], v[120:121], v[146:147]
	v_fma_f64 v[48:49], v[48:49], v[122:123], -v[50:51]
	;; [unrolled: 2-line block ×3, first 2 shown]
	s_waitcnt lgkmcnt(3)
	v_mul_f64 v[46:47], v[42:43], v[130:131]
	v_mul_f64 v[42:43], v[42:43], v[128:129]
	s_waitcnt lgkmcnt(1)
	v_mul_f64 v[118:119], v[58:59], v[138:139]
	v_mul_f64 v[58:59], v[58:59], v[136:137]
	;; [unrolled: 1-line block ×4, first 2 shown]
	s_waitcnt lgkmcnt(0)
	v_mul_f64 v[122:123], v[54:55], v[142:143]
	v_mul_f64 v[54:55], v[54:55], v[140:141]
	v_fma_f64 v[46:47], v[40:41], v[128:129], v[46:47]
	v_fma_f64 v[40:41], v[40:41], v[130:131], -v[42:43]
	v_fma_f64 v[42:43], v[56:57], v[136:137], v[118:119]
	v_fma_f64 v[56:57], v[56:57], v[138:139], -v[58:59]
	;; [unrolled: 2-line block ×4, first 2 shown]
	v_add_f64 v[46:47], v[36:37], -v[46:47]
	v_add_f64 v[40:41], v[38:39], -v[40:41]
	;; [unrolled: 1-line block ×8, first 2 shown]
	v_fma_f64 v[36:37], v[36:37], 2.0, -v[46:47]
	v_fma_f64 v[38:39], v[38:39], 2.0, -v[40:41]
	;; [unrolled: 1-line block ×8, first 2 shown]
	v_add_f64 v[116:117], v[46:47], v[54:55]
	v_add_f64 v[118:119], v[40:41], -v[42:43]
	v_add_f64 v[42:43], v[56:57], v[52:53]
	v_add_f64 v[52:53], v[58:59], -v[64:65]
	v_add_f64 v[62:63], v[36:37], -v[62:63]
	;; [unrolled: 1-line block ×5, first 2 shown]
	v_fma_f64 v[122:123], v[46:47], 2.0, -v[116:117]
	v_fma_f64 v[124:125], v[40:41], 2.0, -v[118:119]
	;; [unrolled: 1-line block ×8, first 2 shown]
	s_mov_b32 s3, 0xbfe6a09e
	s_mov_b32 s5, 0x3fe6a09e
	v_fma_f64 v[50:51], v[40:41], s[2:3], v[122:123]
	v_fma_f64 v[60:61], v[48:49], s[2:3], v[124:125]
	s_mov_b32 s4, s2
	v_fma_f64 v[66:67], v[42:43], s[4:5], v[116:117]
	v_fma_f64 v[126:127], v[52:53], s[4:5], v[118:119]
	v_add_f64 v[44:45], v[56:57], -v[36:37]
	v_add_f64 v[46:47], v[58:59], -v[38:39]
	v_add_f64 v[36:37], v[62:63], v[120:121]
	v_fma_f64 v[48:49], v[48:49], s[4:5], v[50:51]
	v_fma_f64 v[50:51], v[40:41], s[2:3], v[60:61]
	v_add_f64 v[38:39], v[64:65], -v[54:55]
	v_fma_f64 v[40:41], v[52:53], s[4:5], v[66:67]
	v_fma_f64 v[42:43], v[42:43], s[2:3], v[126:127]
	v_fma_f64 v[52:53], v[56:57], 2.0, -v[44:45]
	v_fma_f64 v[54:55], v[58:59], 2.0, -v[46:47]
	;; [unrolled: 1-line block ×8, first 2 shown]
	s_barrier
	ds_write_b128 v159, v[52:55]
	ds_write_b128 v159, v[56:59] offset:192
	ds_write_b128 v159, v[60:63] offset:384
	;; [unrolled: 1-line block ×7, first 2 shown]
	s_waitcnt lgkmcnt(0)
	s_barrier
	ds_read_b128 v[48:51], v153
	ds_read_b128 v[44:47], v153 offset:2304
	ds_read_b128 v[60:63], v153 offset:6144
	;; [unrolled: 1-line block ×5, first 2 shown]
	s_and_saveexec_b64 s[2:3], s[0:1]
	s_cbranch_execz .LBB0_15
; %bb.14:
	ds_read_b128 v[36:39], v153 offset:4608
	ds_read_b128 v[40:43], v153 offset:10752
	;; [unrolled: 1-line block ×3, first 2 shown]
.LBB0_15:
	s_or_b64 exec, exec, s[2:3]
	s_waitcnt lgkmcnt(3)
	v_mul_f64 v[116:117], v[82:83], v[62:63]
	s_waitcnt lgkmcnt(1)
	v_mul_f64 v[118:119], v[78:79], v[66:67]
	v_mul_f64 v[82:83], v[82:83], v[60:61]
	;; [unrolled: 1-line block ×5, first 2 shown]
	s_mov_b32 s2, 0xe8584caa
	s_mov_b32 s3, 0xbfebb67a
	v_fma_f64 v[60:61], v[80:81], v[60:61], v[116:117]
	v_fma_f64 v[64:65], v[76:77], v[64:65], v[118:119]
	s_waitcnt lgkmcnt(0)
	v_mul_f64 v[116:117], v[86:87], v[58:59]
	v_mul_f64 v[86:87], v[86:87], v[56:57]
	v_fma_f64 v[62:63], v[80:81], v[62:63], -v[82:83]
	v_fma_f64 v[66:67], v[76:77], v[66:67], -v[78:79]
	v_fma_f64 v[78:79], v[88:89], v[52:53], v[120:121]
	v_fma_f64 v[54:55], v[88:89], v[54:55], -v[90:91]
	v_add_f64 v[52:53], v[48:49], v[60:61]
	v_add_f64 v[76:77], v[60:61], v[64:65]
	v_fma_f64 v[80:81], v[84:85], v[56:57], v[116:117]
	v_fma_f64 v[82:83], v[84:85], v[58:59], -v[86:87]
	v_add_f64 v[60:61], v[60:61], -v[64:65]
	v_add_f64 v[58:59], v[62:63], v[66:67]
	v_add_f64 v[56:57], v[62:63], -v[66:67]
	v_add_f64 v[62:63], v[50:51], v[62:63]
	s_mov_b32 s5, 0x3febb67a
	v_fma_f64 v[76:77], v[76:77], -0.5, v[48:49]
	v_add_f64 v[84:85], v[78:79], v[80:81]
	v_add_f64 v[86:87], v[54:55], v[82:83]
	s_mov_b32 s4, s2
	v_fma_f64 v[58:59], v[58:59], -0.5, v[50:51]
	v_add_f64 v[48:49], v[52:53], v[64:65]
	v_add_f64 v[64:65], v[44:45], v[78:79]
	;; [unrolled: 1-line block ×3, first 2 shown]
	v_fma_f64 v[52:53], v[56:57], s[2:3], v[76:77]
	v_fma_f64 v[56:57], v[56:57], s[4:5], v[76:77]
	v_fma_f64 v[76:77], v[84:85], -0.5, v[44:45]
	v_add_f64 v[84:85], v[54:55], -v[82:83]
	v_fma_f64 v[86:87], v[86:87], -0.5, v[46:47]
	v_add_f64 v[78:79], v[78:79], -v[80:81]
	v_add_f64 v[50:51], v[62:63], v[66:67]
	v_fma_f64 v[54:55], v[60:61], s[4:5], v[58:59]
	v_fma_f64 v[58:59], v[60:61], s[2:3], v[58:59]
	v_add_f64 v[44:45], v[64:65], v[80:81]
	v_add_f64 v[46:47], v[88:89], v[82:83]
	v_fma_f64 v[60:61], v[84:85], s[2:3], v[76:77]
	v_fma_f64 v[64:65], v[84:85], s[4:5], v[76:77]
	v_fma_f64 v[62:63], v[78:79], s[4:5], v[86:87]
	v_fma_f64 v[66:67], v[78:79], s[2:3], v[86:87]
	s_barrier
	ds_write_b128 v160, v[48:51]
	ds_write_b128 v160, v[52:55] offset:1536
	ds_write_b128 v160, v[56:59] offset:3072
	ds_write_b128 v161, v[44:47]
	ds_write_b128 v161, v[60:63] offset:1536
	ds_write_b128 v161, v[64:67] offset:3072
	s_and_saveexec_b64 s[12:13], s[0:1]
	s_cbranch_execz .LBB0_17
; %bb.16:
	v_mul_f64 v[44:45], v[74:75], v[40:41]
	v_mul_f64 v[46:47], v[70:71], v[32:33]
	;; [unrolled: 1-line block ×4, first 2 shown]
	v_fma_f64 v[42:43], v[72:73], v[42:43], -v[44:45]
	v_fma_f64 v[34:35], v[68:69], v[34:35], -v[46:47]
	v_fma_f64 v[40:41], v[72:73], v[40:41], v[48:49]
	v_fma_f64 v[32:33], v[68:69], v[32:33], v[50:51]
	v_add_f64 v[50:51], v[42:43], v[38:39]
	v_add_f64 v[44:45], v[42:43], v[34:35]
	v_add_f64 v[52:53], v[42:43], -v[34:35]
	v_add_f64 v[46:47], v[40:41], v[32:33]
	v_add_f64 v[48:49], v[40:41], -v[32:33]
	v_add_f64 v[40:41], v[40:41], v[36:37]
	v_add_f64 v[34:35], v[34:35], v[50:51]
	v_fma_f64 v[44:45], v[44:45], -0.5, v[38:39]
	v_fma_f64 v[36:37], v[46:47], -0.5, v[36:37]
	v_add_f64 v[32:33], v[40:41], v[32:33]
	v_fma_f64 v[42:43], v[48:49], s[4:5], v[44:45]
	v_fma_f64 v[38:39], v[48:49], s[2:3], v[44:45]
	;; [unrolled: 1-line block ×4, first 2 shown]
	ds_write_b128 v162, v[32:35] offset:13824
	ds_write_b128 v162, v[40:43] offset:15360
	;; [unrolled: 1-line block ×3, first 2 shown]
.LBB0_17:
	s_or_b64 exec, exec, s[12:13]
	s_waitcnt lgkmcnt(0)
	s_barrier
	ds_read_b128 v[32:35], v153 offset:4608
	ds_read_b128 v[36:39], v153 offset:9216
	;; [unrolled: 1-line block ×4, first 2 shown]
	ds_read_b128 v[48:51], v153
	ds_read_b128 v[52:55], v153 offset:2304
	ds_read_b128 v[56:59], v153 offset:13824
	;; [unrolled: 1-line block ×3, first 2 shown]
	s_waitcnt lgkmcnt(7)
	v_mul_f64 v[64:65], v[98:99], v[34:35]
	v_mul_f64 v[66:67], v[98:99], v[32:33]
	s_waitcnt lgkmcnt(6)
	v_mul_f64 v[68:69], v[102:103], v[38:39]
	v_mul_f64 v[70:71], v[102:103], v[36:37]
	;; [unrolled: 3-line block ×4, first 2 shown]
	v_fma_f64 v[32:33], v[96:97], v[32:33], v[64:65]
	v_fma_f64 v[34:35], v[96:97], v[34:35], -v[66:67]
	v_mul_f64 v[64:65], v[94:95], v[58:59]
	v_mul_f64 v[66:67], v[94:95], v[56:57]
	v_fma_f64 v[36:37], v[100:101], v[36:37], v[68:69]
	v_fma_f64 v[38:39], v[100:101], v[38:39], -v[70:71]
	v_mul_f64 v[68:69], v[106:107], v[42:43]
	v_mul_f64 v[70:71], v[106:107], v[40:41]
	v_fma_f64 v[44:45], v[112:113], v[44:45], v[72:73]
	v_fma_f64 v[46:47], v[112:113], v[46:47], -v[74:75]
	v_fma_f64 v[56:57], v[92:93], v[56:57], v[64:65]
	v_fma_f64 v[58:59], v[92:93], v[58:59], -v[66:67]
	;; [unrolled: 2-line block ×4, first 2 shown]
	v_add_f64 v[64:65], v[48:49], -v[36:37]
	v_add_f64 v[66:67], v[50:51], -v[38:39]
	;; [unrolled: 1-line block ×8, first 2 shown]
	v_fma_f64 v[48:49], v[48:49], 2.0, -v[64:65]
	v_fma_f64 v[50:51], v[50:51], 2.0, -v[66:67]
	;; [unrolled: 1-line block ×8, first 2 shown]
	v_add_f64 v[36:37], v[64:65], v[36:37]
	v_add_f64 v[38:39], v[66:67], -v[38:39]
	v_add_f64 v[32:33], v[48:49], -v[32:33]
	;; [unrolled: 1-line block ×3, first 2 shown]
	v_add_f64 v[44:45], v[68:69], v[44:45]
	v_add_f64 v[46:47], v[70:71], -v[46:47]
	v_add_f64 v[40:41], v[56:57], -v[40:41]
	;; [unrolled: 1-line block ×3, first 2 shown]
	v_fma_f64 v[52:53], v[64:65], 2.0, -v[36:37]
	v_fma_f64 v[54:55], v[66:67], 2.0, -v[38:39]
	;; [unrolled: 1-line block ×8, first 2 shown]
	ds_write_b128 v153, v[48:51]
	ds_write_b128 v153, v[52:55] offset:4608
	ds_write_b128 v153, v[32:35] offset:9216
	;; [unrolled: 1-line block ×7, first 2 shown]
	s_waitcnt lgkmcnt(0)
	s_barrier
	ds_read_b128 v[32:35], v153
	ds_read_b128 v[36:39], v153 offset:2304
	v_mad_u64_u32 v[64:65], s[0:1], s10, v152, 0
	v_mov_b32_e32 v50, s7
	s_waitcnt lgkmcnt(1)
	v_mul_f64 v[41:42], v[30:31], v[34:35]
	v_mul_f64 v[30:31], v[30:31], v[32:33]
	v_mov_b32_e32 v40, v65
	s_mul_i32 s5, s8, 0x1200
	v_fma_f64 v[32:33], v[28:29], v[32:33], v[41:42]
	v_mad_u64_u32 v[43:44], s[0:1], s11, v152, v[40:41]
	v_mad_u64_u32 v[44:45], s[0:1], s8, v154, 0
	s_mov_b32 s0, 0x1c71c71c
	v_fma_f64 v[30:31], v[28:29], v[34:35], -v[30:31]
	s_mov_b32 s1, 0x3f4c71c7
	v_mov_b32_e32 v28, v45
	v_mad_u64_u32 v[40:41], s[2:3], s9, v154, v[28:29]
	v_mul_f64 v[28:29], v[32:33], s[0:1]
	ds_read_b128 v[32:35], v153 offset:4608
	v_mov_b32_e32 v65, v43
	v_mov_b32_e32 v45, v40
	ds_read_b128 v[40:43], v153 offset:6912
	v_mul_f64 v[30:31], v[30:31], s[0:1]
	s_waitcnt lgkmcnt(1)
	v_mul_f64 v[48:49], v[2:3], v[34:35]
	v_mul_f64 v[2:3], v[2:3], v[32:33]
	v_lshlrev_b64 v[46:47], 4, v[64:65]
	v_lshlrev_b64 v[44:45], 4, v[44:45]
	v_add_co_u32_e32 v46, vcc, s6, v46
	v_addc_co_u32_e32 v47, vcc, v50, v47, vcc
	v_fma_f64 v[32:33], v[0:1], v[32:33], v[48:49]
	v_fma_f64 v[34:35], v[0:1], v[34:35], -v[2:3]
	ds_read_b128 v[0:3], v153 offset:9216
	v_add_co_u32_e32 v48, vcc, v46, v44
	v_addc_co_u32_e32 v49, vcc, v47, v45, vcc
	global_store_dwordx4 v[48:49], v[28:31], off
	ds_read_b128 v[44:47], v153 offset:13824
	v_mul_f64 v[28:29], v[32:33], s[0:1]
	v_mul_f64 v[30:31], v[34:35], s[0:1]
	ds_read_b128 v[32:35], v153 offset:11520
	s_waitcnt lgkmcnt(2)
	v_mul_f64 v[50:51], v[6:7], v[2:3]
	v_mul_f64 v[6:7], v[6:7], v[0:1]
	s_mul_i32 s2, s9, 0x1200
	s_mul_hi_u32 s3, s8, 0x1200
	s_add_i32 s4, s3, s2
	v_mov_b32_e32 v54, s4
	v_add_co_u32_e32 v48, vcc, s5, v48
	v_fma_f64 v[50:51], v[4:5], v[0:1], v[50:51]
	v_fma_f64 v[6:7], v[4:5], v[2:3], -v[6:7]
	ds_read_b128 v[0:3], v153 offset:16128
	s_waitcnt lgkmcnt(2)
	v_mul_f64 v[52:53], v[14:15], v[46:47]
	v_mul_f64 v[14:15], v[14:15], v[44:45]
	v_addc_co_u32_e32 v49, vcc, v49, v54, vcc
	global_store_dwordx4 v[48:49], v[28:31], off
	v_mul_f64 v[4:5], v[50:51], s[0:1]
	v_mul_f64 v[6:7], v[6:7], s[0:1]
	v_mov_b32_e32 v31, s4
	v_fma_f64 v[28:29], v[12:13], v[44:45], v[52:53]
	v_fma_f64 v[12:13], v[12:13], v[46:47], -v[14:15]
	v_mul_f64 v[14:15], v[10:11], v[38:39]
	v_mul_f64 v[10:11], v[10:11], v[36:37]
	v_add_co_u32_e32 v30, vcc, s5, v48
	v_addc_co_u32_e32 v31, vcc, v49, v31, vcc
	global_store_dwordx4 v[30:31], v[4:7], off
	s_nop 0
	v_mul_f64 v[4:5], v[28:29], s[0:1]
	v_mul_f64 v[6:7], v[12:13], s[0:1]
	v_fma_f64 v[12:13], v[8:9], v[36:37], v[14:15]
	v_mov_b32_e32 v14, s4
	v_fma_f64 v[8:9], v[8:9], v[38:39], -v[10:11]
	v_add_co_u32_e32 v10, vcc, s5, v30
	v_addc_co_u32_e32 v11, vcc, v31, v14, vcc
	global_store_dwordx4 v[10:11], v[4:7], off
	v_mul_f64 v[14:15], v[18:19], v[40:41]
	v_mul_f64 v[4:5], v[12:13], s[0:1]
	;; [unrolled: 1-line block ×4, first 2 shown]
	v_mov_b32_e32 v8, 0xffffd300
	v_mad_u64_u32 v[8:9], s[2:3], s8, v8, v[10:11]
	s_waitcnt lgkmcnt(0)
	v_mul_f64 v[18:19], v[26:27], v[2:3]
	s_mul_i32 s2, s9, 0xffffd300
	s_sub_i32 s2, s2, s8
	v_fma_f64 v[10:11], v[16:17], v[40:41], v[12:13]
	v_fma_f64 v[12:13], v[16:17], v[42:43], -v[14:15]
	v_mul_f64 v[14:15], v[22:23], v[34:35]
	v_mul_f64 v[16:17], v[22:23], v[32:33]
	;; [unrolled: 1-line block ×3, first 2 shown]
	v_add_u32_e32 v9, s2, v9
	global_store_dwordx4 v[8:9], v[4:7], off
	v_mov_b32_e32 v26, s4
	v_mul_f64 v[4:5], v[10:11], s[0:1]
	v_mul_f64 v[6:7], v[12:13], s[0:1]
	v_fma_f64 v[10:11], v[20:21], v[32:33], v[14:15]
	v_fma_f64 v[12:13], v[20:21], v[34:35], -v[16:17]
	v_fma_f64 v[14:15], v[24:25], v[0:1], v[18:19]
	v_fma_f64 v[16:17], v[24:25], v[2:3], -v[22:23]
	v_add_co_u32_e32 v8, vcc, s5, v8
	v_addc_co_u32_e32 v9, vcc, v9, v26, vcc
	v_mul_f64 v[0:1], v[10:11], s[0:1]
	v_mul_f64 v[2:3], v[12:13], s[0:1]
	global_store_dwordx4 v[8:9], v[4:7], off
	v_mov_b32_e32 v10, s4
	v_mul_f64 v[4:5], v[14:15], s[0:1]
	v_mul_f64 v[6:7], v[16:17], s[0:1]
	v_add_co_u32_e32 v8, vcc, s5, v8
	v_addc_co_u32_e32 v9, vcc, v9, v10, vcc
	global_store_dwordx4 v[8:9], v[0:3], off
	s_nop 0
	v_mov_b32_e32 v1, s4
	v_add_co_u32_e32 v0, vcc, s5, v8
	v_addc_co_u32_e32 v1, vcc, v9, v1, vcc
	global_store_dwordx4 v[0:1], v[4:7], off
.LBB0_18:
	s_endpgm
	.section	.rodata,"a",@progbits
	.p2align	6, 0x0
	.amdhsa_kernel bluestein_single_back_len1152_dim1_dp_op_CI_CI
		.amdhsa_group_segment_fixed_size 18432
		.amdhsa_private_segment_fixed_size 0
		.amdhsa_kernarg_size 104
		.amdhsa_user_sgpr_count 6
		.amdhsa_user_sgpr_private_segment_buffer 1
		.amdhsa_user_sgpr_dispatch_ptr 0
		.amdhsa_user_sgpr_queue_ptr 0
		.amdhsa_user_sgpr_kernarg_segment_ptr 1
		.amdhsa_user_sgpr_dispatch_id 0
		.amdhsa_user_sgpr_flat_scratch_init 0
		.amdhsa_user_sgpr_private_segment_size 0
		.amdhsa_uses_dynamic_stack 0
		.amdhsa_system_sgpr_private_segment_wavefront_offset 0
		.amdhsa_system_sgpr_workgroup_id_x 1
		.amdhsa_system_sgpr_workgroup_id_y 0
		.amdhsa_system_sgpr_workgroup_id_z 0
		.amdhsa_system_sgpr_workgroup_info 0
		.amdhsa_system_vgpr_workitem_id 0
		.amdhsa_next_free_vgpr 217
		.amdhsa_next_free_sgpr 20
		.amdhsa_reserve_vcc 1
		.amdhsa_reserve_flat_scratch 0
		.amdhsa_float_round_mode_32 0
		.amdhsa_float_round_mode_16_64 0
		.amdhsa_float_denorm_mode_32 3
		.amdhsa_float_denorm_mode_16_64 3
		.amdhsa_dx10_clamp 1
		.amdhsa_ieee_mode 1
		.amdhsa_fp16_overflow 0
		.amdhsa_exception_fp_ieee_invalid_op 0
		.amdhsa_exception_fp_denorm_src 0
		.amdhsa_exception_fp_ieee_div_zero 0
		.amdhsa_exception_fp_ieee_overflow 0
		.amdhsa_exception_fp_ieee_underflow 0
		.amdhsa_exception_fp_ieee_inexact 0
		.amdhsa_exception_int_div_zero 0
	.end_amdhsa_kernel
	.text
.Lfunc_end0:
	.size	bluestein_single_back_len1152_dim1_dp_op_CI_CI, .Lfunc_end0-bluestein_single_back_len1152_dim1_dp_op_CI_CI
                                        ; -- End function
	.section	.AMDGPU.csdata,"",@progbits
; Kernel info:
; codeLenInByte = 9508
; NumSgprs: 24
; NumVgprs: 217
; ScratchSize: 0
; MemoryBound: 0
; FloatMode: 240
; IeeeMode: 1
; LDSByteSize: 18432 bytes/workgroup (compile time only)
; SGPRBlocks: 2
; VGPRBlocks: 54
; NumSGPRsForWavesPerEU: 24
; NumVGPRsForWavesPerEU: 217
; Occupancy: 1
; WaveLimiterHint : 1
; COMPUTE_PGM_RSRC2:SCRATCH_EN: 0
; COMPUTE_PGM_RSRC2:USER_SGPR: 6
; COMPUTE_PGM_RSRC2:TRAP_HANDLER: 0
; COMPUTE_PGM_RSRC2:TGID_X_EN: 1
; COMPUTE_PGM_RSRC2:TGID_Y_EN: 0
; COMPUTE_PGM_RSRC2:TGID_Z_EN: 0
; COMPUTE_PGM_RSRC2:TIDIG_COMP_CNT: 0
	.type	__hip_cuid_f7ed692d7d6c8280,@object ; @__hip_cuid_f7ed692d7d6c8280
	.section	.bss,"aw",@nobits
	.globl	__hip_cuid_f7ed692d7d6c8280
__hip_cuid_f7ed692d7d6c8280:
	.byte	0                               ; 0x0
	.size	__hip_cuid_f7ed692d7d6c8280, 1

	.ident	"AMD clang version 19.0.0git (https://github.com/RadeonOpenCompute/llvm-project roc-6.4.0 25133 c7fe45cf4b819c5991fe208aaa96edf142730f1d)"
	.section	".note.GNU-stack","",@progbits
	.addrsig
	.addrsig_sym __hip_cuid_f7ed692d7d6c8280
	.amdgpu_metadata
---
amdhsa.kernels:
  - .args:
      - .actual_access:  read_only
        .address_space:  global
        .offset:         0
        .size:           8
        .value_kind:     global_buffer
      - .actual_access:  read_only
        .address_space:  global
        .offset:         8
        .size:           8
        .value_kind:     global_buffer
      - .actual_access:  read_only
        .address_space:  global
        .offset:         16
        .size:           8
        .value_kind:     global_buffer
      - .actual_access:  read_only
        .address_space:  global
        .offset:         24
        .size:           8
        .value_kind:     global_buffer
      - .actual_access:  read_only
        .address_space:  global
        .offset:         32
        .size:           8
        .value_kind:     global_buffer
      - .offset:         40
        .size:           8
        .value_kind:     by_value
      - .address_space:  global
        .offset:         48
        .size:           8
        .value_kind:     global_buffer
      - .address_space:  global
        .offset:         56
        .size:           8
        .value_kind:     global_buffer
      - .address_space:  global
        .offset:         64
        .size:           8
        .value_kind:     global_buffer
      - .address_space:  global
        .offset:         72
        .size:           8
        .value_kind:     global_buffer
      - .offset:         80
        .size:           4
        .value_kind:     by_value
      - .address_space:  global
        .offset:         88
        .size:           8
        .value_kind:     global_buffer
      - .address_space:  global
        .offset:         96
        .size:           8
        .value_kind:     global_buffer
    .group_segment_fixed_size: 18432
    .kernarg_segment_align: 8
    .kernarg_segment_size: 104
    .language:       OpenCL C
    .language_version:
      - 2
      - 0
    .max_flat_workgroup_size: 144
    .name:           bluestein_single_back_len1152_dim1_dp_op_CI_CI
    .private_segment_fixed_size: 0
    .sgpr_count:     24
    .sgpr_spill_count: 0
    .symbol:         bluestein_single_back_len1152_dim1_dp_op_CI_CI.kd
    .uniform_work_group_size: 1
    .uses_dynamic_stack: false
    .vgpr_count:     217
    .vgpr_spill_count: 0
    .wavefront_size: 64
amdhsa.target:   amdgcn-amd-amdhsa--gfx906
amdhsa.version:
  - 1
  - 2
...

	.end_amdgpu_metadata
